;; amdgpu-corpus repo=ROCm/rocFFT kind=compiled arch=gfx906 opt=O3
	.text
	.amdgcn_target "amdgcn-amd-amdhsa--gfx906"
	.amdhsa_code_object_version 6
	.protected	fft_rtc_back_len300_factors_10_10_3_wgs_60_tpt_30_halfLds_sp_op_CI_CI_unitstride_sbrr_dirReg ; -- Begin function fft_rtc_back_len300_factors_10_10_3_wgs_60_tpt_30_halfLds_sp_op_CI_CI_unitstride_sbrr_dirReg
	.globl	fft_rtc_back_len300_factors_10_10_3_wgs_60_tpt_30_halfLds_sp_op_CI_CI_unitstride_sbrr_dirReg
	.p2align	8
	.type	fft_rtc_back_len300_factors_10_10_3_wgs_60_tpt_30_halfLds_sp_op_CI_CI_unitstride_sbrr_dirReg,@function
fft_rtc_back_len300_factors_10_10_3_wgs_60_tpt_30_halfLds_sp_op_CI_CI_unitstride_sbrr_dirReg: ; @fft_rtc_back_len300_factors_10_10_3_wgs_60_tpt_30_halfLds_sp_op_CI_CI_unitstride_sbrr_dirReg
; %bb.0:
	s_load_dwordx4 s[12:15], s[4:5], 0x58
	s_load_dwordx4 s[8:11], s[4:5], 0x0
	;; [unrolled: 1-line block ×3, first 2 shown]
	v_mul_u32_u24_e32 v1, 0x889, v0
	v_lshrrev_b32_e32 v26, 16, v1
	v_mov_b32_e32 v5, 0
	s_waitcnt lgkmcnt(0)
	v_cmp_lt_u64_e64 s[0:1], s[10:11], 2
	v_mov_b32_e32 v9, 0
	v_lshl_add_u32 v7, s6, 1, v26
	v_mov_b32_e32 v8, v5
	s_and_b64 vcc, exec, s[0:1]
	v_mov_b32_e32 v10, 0
	s_cbranch_vccnz .LBB0_8
; %bb.1:
	s_load_dwordx2 s[0:1], s[4:5], 0x10
	s_add_u32 s2, s18, 8
	s_addc_u32 s3, s19, 0
	s_add_u32 s6, s16, 8
	s_addc_u32 s7, s17, 0
	v_mov_b32_e32 v9, 0
	s_waitcnt lgkmcnt(0)
	s_add_u32 s20, s0, 8
	v_mov_b32_e32 v10, 0
	v_mov_b32_e32 v1, v9
	s_addc_u32 s21, s1, 0
	s_mov_b64 s[22:23], 1
	v_mov_b32_e32 v2, v10
.LBB0_2:                                ; =>This Inner Loop Header: Depth=1
	s_load_dwordx2 s[24:25], s[20:21], 0x0
                                        ; implicit-def: $vgpr3_vgpr4
	s_waitcnt lgkmcnt(0)
	v_or_b32_e32 v6, s25, v8
	v_cmp_ne_u64_e32 vcc, 0, v[5:6]
	s_and_saveexec_b64 s[0:1], vcc
	s_xor_b64 s[26:27], exec, s[0:1]
	s_cbranch_execz .LBB0_4
; %bb.3:                                ;   in Loop: Header=BB0_2 Depth=1
	v_cvt_f32_u32_e32 v3, s24
	v_cvt_f32_u32_e32 v4, s25
	s_sub_u32 s0, 0, s24
	s_subb_u32 s1, 0, s25
	v_mac_f32_e32 v3, 0x4f800000, v4
	v_rcp_f32_e32 v3, v3
	v_mul_f32_e32 v3, 0x5f7ffffc, v3
	v_mul_f32_e32 v4, 0x2f800000, v3
	v_trunc_f32_e32 v4, v4
	v_mac_f32_e32 v3, 0xcf800000, v4
	v_cvt_u32_f32_e32 v4, v4
	v_cvt_u32_f32_e32 v3, v3
	v_mul_lo_u32 v6, s0, v4
	v_mul_hi_u32 v11, s0, v3
	v_mul_lo_u32 v13, s1, v3
	v_mul_lo_u32 v12, s0, v3
	v_add_u32_e32 v6, v11, v6
	v_add_u32_e32 v6, v6, v13
	v_mul_hi_u32 v11, v3, v12
	v_mul_lo_u32 v13, v3, v6
	v_mul_hi_u32 v15, v3, v6
	v_mul_hi_u32 v14, v4, v12
	v_mul_lo_u32 v12, v4, v12
	v_mul_hi_u32 v16, v4, v6
	v_add_co_u32_e32 v11, vcc, v11, v13
	v_addc_co_u32_e32 v13, vcc, 0, v15, vcc
	v_mul_lo_u32 v6, v4, v6
	v_add_co_u32_e32 v11, vcc, v11, v12
	v_addc_co_u32_e32 v11, vcc, v13, v14, vcc
	v_addc_co_u32_e32 v12, vcc, 0, v16, vcc
	v_add_co_u32_e32 v6, vcc, v11, v6
	v_addc_co_u32_e32 v11, vcc, 0, v12, vcc
	v_add_co_u32_e32 v3, vcc, v3, v6
	v_addc_co_u32_e32 v4, vcc, v4, v11, vcc
	v_mul_lo_u32 v6, s0, v4
	v_mul_hi_u32 v11, s0, v3
	v_mul_lo_u32 v12, s1, v3
	v_mul_lo_u32 v13, s0, v3
	v_add_u32_e32 v6, v11, v6
	v_add_u32_e32 v6, v6, v12
	v_mul_lo_u32 v14, v3, v6
	v_mul_hi_u32 v15, v3, v13
	v_mul_hi_u32 v16, v3, v6
	;; [unrolled: 1-line block ×3, first 2 shown]
	v_mul_lo_u32 v13, v4, v13
	v_mul_hi_u32 v11, v4, v6
	v_add_co_u32_e32 v14, vcc, v15, v14
	v_addc_co_u32_e32 v15, vcc, 0, v16, vcc
	v_mul_lo_u32 v6, v4, v6
	v_add_co_u32_e32 v13, vcc, v14, v13
	v_addc_co_u32_e32 v12, vcc, v15, v12, vcc
	v_addc_co_u32_e32 v11, vcc, 0, v11, vcc
	v_add_co_u32_e32 v6, vcc, v12, v6
	v_addc_co_u32_e32 v11, vcc, 0, v11, vcc
	v_add_co_u32_e32 v6, vcc, v3, v6
	v_addc_co_u32_e32 v11, vcc, v4, v11, vcc
	v_mad_u64_u32 v[3:4], s[0:1], v7, v11, 0
	v_mul_hi_u32 v12, v7, v6
	v_add_co_u32_e32 v13, vcc, v12, v3
	v_addc_co_u32_e32 v14, vcc, 0, v4, vcc
	v_mad_u64_u32 v[3:4], s[0:1], v8, v6, 0
	v_mad_u64_u32 v[11:12], s[0:1], v8, v11, 0
	v_add_co_u32_e32 v3, vcc, v13, v3
	v_addc_co_u32_e32 v3, vcc, v14, v4, vcc
	v_addc_co_u32_e32 v4, vcc, 0, v12, vcc
	v_add_co_u32_e32 v6, vcc, v3, v11
	v_addc_co_u32_e32 v11, vcc, 0, v4, vcc
	v_mul_lo_u32 v12, s25, v6
	v_mul_lo_u32 v13, s24, v11
	v_mad_u64_u32 v[3:4], s[0:1], s24, v6, 0
	v_add3_u32 v4, v4, v13, v12
	v_sub_u32_e32 v12, v8, v4
	v_mov_b32_e32 v13, s25
	v_sub_co_u32_e32 v3, vcc, v7, v3
	v_subb_co_u32_e64 v12, s[0:1], v12, v13, vcc
	v_subrev_co_u32_e64 v13, s[0:1], s24, v3
	v_subbrev_co_u32_e64 v12, s[0:1], 0, v12, s[0:1]
	v_cmp_le_u32_e64 s[0:1], s25, v12
	v_cndmask_b32_e64 v14, 0, -1, s[0:1]
	v_cmp_le_u32_e64 s[0:1], s24, v13
	v_cndmask_b32_e64 v13, 0, -1, s[0:1]
	v_cmp_eq_u32_e64 s[0:1], s25, v12
	v_cndmask_b32_e64 v12, v14, v13, s[0:1]
	v_add_co_u32_e64 v13, s[0:1], 2, v6
	v_addc_co_u32_e64 v14, s[0:1], 0, v11, s[0:1]
	v_add_co_u32_e64 v15, s[0:1], 1, v6
	v_addc_co_u32_e64 v16, s[0:1], 0, v11, s[0:1]
	v_subb_co_u32_e32 v4, vcc, v8, v4, vcc
	v_cmp_ne_u32_e64 s[0:1], 0, v12
	v_cmp_le_u32_e32 vcc, s25, v4
	v_cndmask_b32_e64 v12, v16, v14, s[0:1]
	v_cndmask_b32_e64 v14, 0, -1, vcc
	v_cmp_le_u32_e32 vcc, s24, v3
	v_cndmask_b32_e64 v3, 0, -1, vcc
	v_cmp_eq_u32_e32 vcc, s25, v4
	v_cndmask_b32_e32 v3, v14, v3, vcc
	v_cmp_ne_u32_e32 vcc, 0, v3
	v_cndmask_b32_e64 v3, v15, v13, s[0:1]
	v_cndmask_b32_e32 v4, v11, v12, vcc
	v_cndmask_b32_e32 v3, v6, v3, vcc
.LBB0_4:                                ;   in Loop: Header=BB0_2 Depth=1
	s_andn2_saveexec_b64 s[0:1], s[26:27]
	s_cbranch_execz .LBB0_6
; %bb.5:                                ;   in Loop: Header=BB0_2 Depth=1
	v_cvt_f32_u32_e32 v3, s24
	s_sub_i32 s26, 0, s24
	v_rcp_iflag_f32_e32 v3, v3
	v_mul_f32_e32 v3, 0x4f7ffffe, v3
	v_cvt_u32_f32_e32 v3, v3
	v_mul_lo_u32 v4, s26, v3
	v_mul_hi_u32 v4, v3, v4
	v_add_u32_e32 v3, v3, v4
	v_mul_hi_u32 v3, v7, v3
	v_mul_lo_u32 v4, v3, s24
	v_add_u32_e32 v6, 1, v3
	v_sub_u32_e32 v4, v7, v4
	v_subrev_u32_e32 v11, s24, v4
	v_cmp_le_u32_e32 vcc, s24, v4
	v_cndmask_b32_e32 v4, v4, v11, vcc
	v_cndmask_b32_e32 v3, v3, v6, vcc
	v_add_u32_e32 v6, 1, v3
	v_cmp_le_u32_e32 vcc, s24, v4
	v_cndmask_b32_e32 v3, v3, v6, vcc
	v_mov_b32_e32 v4, v5
.LBB0_6:                                ;   in Loop: Header=BB0_2 Depth=1
	s_or_b64 exec, exec, s[0:1]
	v_mul_lo_u32 v6, v4, s24
	v_mul_lo_u32 v13, v3, s25
	v_mad_u64_u32 v[11:12], s[0:1], v3, s24, 0
	s_load_dwordx2 s[0:1], s[6:7], 0x0
	s_load_dwordx2 s[24:25], s[2:3], 0x0
	v_add3_u32 v6, v12, v13, v6
	v_sub_co_u32_e32 v7, vcc, v7, v11
	v_subb_co_u32_e32 v6, vcc, v8, v6, vcc
	s_waitcnt lgkmcnt(0)
	v_mul_lo_u32 v8, s0, v6
	v_mul_lo_u32 v11, s1, v7
	v_mad_u64_u32 v[9:10], s[0:1], s0, v7, v[9:10]
	v_mul_lo_u32 v6, s24, v6
	v_mul_lo_u32 v12, s25, v7
	v_mad_u64_u32 v[1:2], s[0:1], s24, v7, v[1:2]
	s_add_u32 s22, s22, 1
	s_addc_u32 s23, s23, 0
	s_add_u32 s2, s2, 8
	v_add3_u32 v2, v12, v2, v6
	s_addc_u32 s3, s3, 0
	v_mov_b32_e32 v6, s10
	s_add_u32 s6, s6, 8
	v_mov_b32_e32 v7, s11
	s_addc_u32 s7, s7, 0
	v_cmp_ge_u64_e32 vcc, s[22:23], v[6:7]
	s_add_u32 s20, s20, 8
	v_add3_u32 v10, v11, v10, v8
	s_addc_u32 s21, s21, 0
	s_cbranch_vccnz .LBB0_9
; %bb.7:                                ;   in Loop: Header=BB0_2 Depth=1
	v_mov_b32_e32 v8, v4
	v_mov_b32_e32 v7, v3
	s_branch .LBB0_2
.LBB0_8:
	v_mov_b32_e32 v1, v9
	v_mov_b32_e32 v3, v7
	;; [unrolled: 1-line block ×4, first 2 shown]
.LBB0_9:
	s_load_dwordx2 s[0:1], s[4:5], 0x28
	s_lshl_b64 s[6:7], s[10:11], 3
	s_add_u32 s2, s18, s6
	s_addc_u32 s3, s19, s7
                                        ; implicit-def: $vgpr27
	s_waitcnt lgkmcnt(0)
	v_cmp_gt_u64_e32 vcc, s[0:1], v[3:4]
	v_cmp_le_u64_e64 s[0:1], s[0:1], v[3:4]
	s_and_saveexec_b64 s[4:5], s[0:1]
	s_xor_b64 s[0:1], exec, s[4:5]
; %bb.10:
	s_mov_b32 s4, 0x8888889
	v_mul_hi_u32 v5, v0, s4
                                        ; implicit-def: $vgpr9_vgpr10
	v_mul_u32_u24_e32 v5, 30, v5
	v_sub_u32_e32 v27, v0, v5
                                        ; implicit-def: $vgpr0
; %bb.11:
	s_or_saveexec_b64 s[4:5], s[0:1]
                                        ; implicit-def: $vgpr21
                                        ; implicit-def: $vgpr23
                                        ; implicit-def: $vgpr15
                                        ; implicit-def: $vgpr17
                                        ; implicit-def: $vgpr13
                                        ; implicit-def: $vgpr19
                                        ; implicit-def: $vgpr25
                                        ; implicit-def: $vgpr11
                                        ; implicit-def: $vgpr8
                                        ; implicit-def: $vgpr6
	s_xor_b64 exec, exec, s[4:5]
	s_cbranch_execz .LBB0_13
; %bb.12:
	s_add_u32 s0, s16, s6
	s_addc_u32 s1, s17, s7
	s_load_dwordx2 s[0:1], s[0:1], 0x0
	s_mov_b32 s6, 0x8888889
	v_mul_hi_u32 v7, v0, s6
	s_waitcnt lgkmcnt(0)
	v_mul_lo_u32 v8, s1, v3
	v_mul_lo_u32 v11, s0, v4
	v_mad_u64_u32 v[5:6], s[0:1], s0, v3, 0
	v_mul_u32_u24_e32 v7, 30, v7
	v_sub_u32_e32 v27, v0, v7
	v_add3_u32 v6, v6, v11, v8
	v_lshlrev_b64 v[5:6], 3, v[5:6]
	v_mov_b32_e32 v0, s13
	v_add_co_u32_e64 v7, s[0:1], s12, v5
	v_addc_co_u32_e64 v0, s[0:1], v0, v6, s[0:1]
	v_lshlrev_b64 v[5:6], 3, v[9:10]
	v_add_co_u32_e64 v5, s[0:1], v7, v5
	v_addc_co_u32_e64 v0, s[0:1], v0, v6, s[0:1]
	v_lshlrev_b32_e32 v6, 3, v27
	v_add_co_u32_e64 v28, s[0:1], v5, v6
	v_addc_co_u32_e64 v29, s[0:1], 0, v0, s[0:1]
	global_load_dwordx2 v[5:6], v[28:29], off
	global_load_dwordx2 v[7:8], v[28:29], off offset:240
	global_load_dwordx2 v[10:11], v[28:29], off offset:480
	;; [unrolled: 1-line block ×9, first 2 shown]
.LBB0_13:
	s_or_b64 exec, exec, s[4:5]
	s_waitcnt vmcnt(5)
	v_sub_f32_e32 v0, v10, v18
	s_waitcnt vmcnt(1)
	v_sub_f32_e32 v9, v22, v16
	v_add_f32_e32 v0, v9, v0
	v_add_f32_e32 v9, v16, v18
	v_fma_f32 v30, -0.5, v9, v5
	v_add_f32_e32 v9, v22, v10
	v_add_f32_e32 v28, v10, v5
	v_fmac_f32_e32 v5, -0.5, v9
	v_sub_f32_e32 v31, v19, v17
	v_mov_b32_e32 v32, v5
	v_sub_f32_e32 v9, v18, v10
	v_sub_f32_e32 v29, v16, v22
	v_fmac_f32_e32 v32, 0x3f737871, v31
	v_sub_f32_e32 v33, v11, v23
	v_fmac_f32_e32 v5, 0xbf737871, v31
	v_add_f32_e32 v9, v29, v9
	v_fmac_f32_e32 v32, 0xbf167918, v33
	v_fmac_f32_e32 v5, 0x3f167918, v33
	v_fmac_f32_e32 v32, 0x3e9e377a, v9
	v_fmac_f32_e32 v5, 0x3e9e377a, v9
	v_sub_f32_e32 v9, v24, v12
	s_waitcnt vmcnt(0)
	v_sub_f32_e32 v29, v20, v14
	v_add_f32_e32 v34, v29, v9
	v_add_f32_e32 v9, v14, v12
	v_fma_f32 v35, -0.5, v9, v7
	v_add_f32_e32 v9, v20, v24
	v_add_f32_e32 v29, v24, v7
	v_fmac_f32_e32 v7, -0.5, v9
	v_sub_f32_e32 v9, v12, v24
	v_sub_f32_e32 v36, v14, v20
	v_add_f32_e32 v9, v36, v9
	v_sub_f32_e32 v36, v13, v15
	v_mov_b32_e32 v37, v7
	v_fmac_f32_e32 v37, 0x3f737871, v36
	v_sub_f32_e32 v38, v25, v21
	v_fmac_f32_e32 v7, 0xbf737871, v36
	v_fmac_f32_e32 v37, 0xbf167918, v38
	;; [unrolled: 1-line block ×5, first 2 shown]
	v_sub_f32_e32 v9, v25, v13
	v_sub_f32_e32 v39, v21, v15
	v_add_f32_e32 v39, v39, v9
	v_add_f32_e32 v9, v15, v13
	v_fma_f32 v40, -0.5, v9, v8
	v_add_f32_e32 v9, v21, v25
	v_add_f32_e32 v41, v25, v8
	v_fmac_f32_e32 v8, -0.5, v9
	v_sub_f32_e32 v43, v12, v14
	v_mov_b32_e32 v44, v8
	v_add_f32_e32 v12, v12, v29
	v_sub_f32_e32 v42, v24, v20
	v_sub_f32_e32 v9, v13, v25
	;; [unrolled: 1-line block ×3, first 2 shown]
	v_fmac_f32_e32 v44, 0xbf737871, v43
	v_fmac_f32_e32 v8, 0x3f737871, v43
	v_add_f32_e32 v12, v14, v12
	v_add_f32_e32 v9, v24, v9
	v_fmac_f32_e32 v44, 0x3f167918, v42
	v_fmac_f32_e32 v8, 0xbf167918, v42
	v_add_f32_e32 v12, v20, v12
	v_mov_b32_e32 v20, v40
	v_fmac_f32_e32 v44, 0x3e9e377a, v9
	v_fmac_f32_e32 v8, 0x3e9e377a, v9
	v_and_b32_e32 v9, 1, v26
	v_mov_b32_e32 v14, v35
	v_fmac_f32_e32 v20, 0x3f737871, v42
	v_mov_b32_e32 v24, 0x4b0
	v_cmp_eq_u32_e64 s[0:1], 1, v9
	v_mov_b32_e32 v45, v30
	v_fmac_f32_e32 v14, 0xbf737871, v38
	v_fmac_f32_e32 v20, 0x3f167918, v43
	;; [unrolled: 1-line block ×3, first 2 shown]
	v_cndmask_b32_e64 v9, 0, v24, s[0:1]
	v_add_f32_e32 v24, v18, v28
	v_fmac_f32_e32 v45, 0xbf737871, v33
	v_fmac_f32_e32 v14, 0xbf167918, v36
	;; [unrolled: 1-line block ×6, first 2 shown]
	v_add_f32_e32 v24, v16, v24
	v_fmac_f32_e32 v45, 0xbf167918, v31
	v_fmac_f32_e32 v14, 0x3e9e377a, v34
	v_mul_f32_e32 v46, 0xbf167918, v20
	v_mul_f32_e32 v47, 0xbf737871, v44
	;; [unrolled: 1-line block ×3, first 2 shown]
	v_fmac_f32_e32 v30, 0x3f167918, v31
	v_fmac_f32_e32 v35, 0x3f167918, v36
	;; [unrolled: 1-line block ×3, first 2 shown]
	v_add_f32_e32 v26, v22, v24
	v_fmac_f32_e32 v45, 0x3e9e377a, v0
	v_fmac_f32_e32 v46, 0x3f4f1bbd, v14
	;; [unrolled: 1-line block ×4, first 2 shown]
	v_mul_u32_u24_e32 v49, 10, v27
	v_add_u32_e32 v50, 0, v9
	v_fmac_f32_e32 v30, 0x3e9e377a, v0
	v_fmac_f32_e32 v35, 0x3e9e377a, v34
	v_mul_f32_e32 v0, 0xbf167918, v40
	v_add_f32_e32 v24, v12, v26
	v_add_f32_e32 v25, v45, v46
	;; [unrolled: 1-line block ×4, first 2 shown]
	v_lshl_add_u32 v49, v49, 2, v50
	v_fmac_f32_e32 v0, 0xbf4f1bbd, v35
	ds_write2_b64 v49, v[24:25], v[28:29] offset1:1
	v_sub_f32_e32 v24, v45, v46
	v_sub_f32_e32 v25, v32, v47
	;; [unrolled: 1-line block ×3, first 2 shown]
	v_add_f32_e32 v28, v30, v0
	v_add_f32_e32 v12, v11, v6
	ds_write2_b64 v49, v[28:29], v[24:25] offset0:2 offset1:3
	v_add_f32_e32 v12, v19, v12
	v_add_f32_e32 v24, v17, v19
	v_sub_f32_e32 v22, v10, v22
	v_add_f32_e32 v10, v23, v11
	v_sub_f32_e32 v16, v18, v16
	v_sub_f32_e32 v18, v11, v19
	;; [unrolled: 1-line block ×3, first 2 shown]
	v_add_f32_e32 v11, v17, v12
	v_sub_f32_e32 v12, v23, v17
	v_sub_f32_e32 v17, v17, v23
	v_fma_f32 v31, -0.5, v24, v6
	v_fmac_f32_e32 v6, -0.5, v10
	v_add_f32_e32 v10, v17, v19
	v_mov_b32_e32 v17, v6
	v_mov_b32_e32 v32, v31
	v_add_f32_e32 v23, v23, v11
	v_add_f32_e32 v11, v13, v41
	v_fmac_f32_e32 v17, 0xbf737871, v16
	v_fmac_f32_e32 v6, 0x3f737871, v16
	;; [unrolled: 1-line block ×3, first 2 shown]
	v_mul_f32_e32 v34, 0xbe9e377a, v8
	v_add_f32_e32 v11, v15, v11
	v_add_f32_e32 v26, v12, v18
	v_fmac_f32_e32 v17, 0x3f167918, v22
	v_fmac_f32_e32 v6, 0xbf167918, v22
	v_mul_f32_e32 v14, 0x3f167918, v14
	v_fmac_f32_e32 v32, 0x3f167918, v16
	v_mul_f32_e32 v33, 0x3f737871, v37
	v_fmac_f32_e32 v34, 0x3f737871, v7
	v_sub_f32_e32 v8, v30, v0
	v_sub_f32_e32 v7, v5, v48
	v_fmac_f32_e32 v31, 0xbf737871, v22
	v_add_f32_e32 v15, v21, v11
	v_fmac_f32_e32 v17, 0x3e9e377a, v10
	v_fmac_f32_e32 v6, 0x3e9e377a, v10
	v_fmac_f32_e32 v14, 0x3f4f1bbd, v20
	v_fmac_f32_e32 v32, 0x3e9e377a, v26
	v_fmac_f32_e32 v33, 0x3e9e377a, v44
	ds_write_b64 v49, v[7:8] offset:32
	v_fmac_f32_e32 v31, 0xbf167918, v16
	v_mul_f32_e32 v7, 0xbf4f1bbd, v40
	v_add_f32_e32 v10, v15, v23
	v_add_f32_e32 v11, v32, v14
	;; [unrolled: 1-line block ×4, first 2 shown]
	v_lshl_add_u32 v8, v27, 2, v50
	s_movk_i32 s0, 0xffdc
	v_fmac_f32_e32 v31, 0x3e9e377a, v26
	v_fmac_f32_e32 v7, 0x3f167918, v35
	s_load_dwordx2 s[2:3], s[2:3], 0x0
	s_waitcnt lgkmcnt(0)
	; wave barrier
	s_waitcnt lgkmcnt(0)
	v_mad_i32_i24 v0, v27, s0, v49
	ds_read_b32 v43, v8
	ds_read_b32 v44, v0 offset:1080
	ds_read2_b32 v[18:19], v0 offset0:30 offset1:60
	ds_read2_b32 v[20:21], v0 offset0:90 offset1:120
	;; [unrolled: 1-line block ×4, first 2 shown]
	s_waitcnt lgkmcnt(0)
	; wave barrier
	s_waitcnt lgkmcnt(0)
	ds_write2_b64 v49, v[10:11], v[12:13] offset1:1
	v_sub_f32_e32 v10, v32, v14
	v_sub_f32_e32 v11, v17, v33
	;; [unrolled: 1-line block ×3, first 2 shown]
	v_add_f32_e32 v12, v31, v7
	v_sub_f32_e32 v5, v6, v34
	s_movk_i32 s0, 0xcd
	v_sub_f32_e32 v6, v31, v7
	ds_write2_b64 v49, v[12:13], v[10:11] offset0:2 offset1:3
	ds_write_b64 v49, v[5:6] offset:32
	v_mul_lo_u16_sdwa v5, v27, s0 dst_sel:DWORD dst_unused:UNUSED_PAD src0_sel:BYTE_0 src1_sel:DWORD
	v_lshrrev_b16_e32 v45, 11, v5
	v_mul_lo_u16_e32 v5, 10, v45
	v_sub_u16_e32 v46, v27, v5
	v_mov_b32_e32 v5, 9
	v_mul_u32_u24_sdwa v5, v46, v5 dst_sel:DWORD dst_unused:UNUSED_PAD src0_sel:BYTE_0 src1_sel:DWORD
	v_lshlrev_b32_e32 v7, 3, v5
	s_waitcnt lgkmcnt(0)
	; wave barrier
	s_waitcnt lgkmcnt(0)
	global_load_dwordx4 v[10:13], v7, s[8:9]
	global_load_dwordx4 v[14:17], v7, s[8:9] offset:16
	global_load_dwordx4 v[31:34], v7, s[8:9] offset:32
	;; [unrolled: 1-line block ×3, first 2 shown]
	global_load_dwordx2 v[5:6], v7, s[8:9] offset:64
	ds_read2_b32 v[39:40], v0 offset0:30 offset1:60
	ds_read2_b32 v[41:42], v0 offset0:90 offset1:120
	s_movk_i32 s0, 0x190
	s_mov_b32 s7, 0x3f737871
	s_mov_b32 s6, 0x3f167918
	s_waitcnt vmcnt(4) lgkmcnt(1)
	v_mul_f32_e32 v7, v39, v11
	v_mul_f32_e32 v23, v40, v13
	v_mul_f32_e32 v11, v18, v11
	v_mul_f32_e32 v13, v19, v13
	v_fmac_f32_e32 v7, v18, v10
	v_fmac_f32_e32 v23, v19, v12
	v_fma_f32 v10, v39, v10, -v11
	v_fma_f32 v19, v40, v12, -v13
	ds_read2_b32 v[11:12], v0 offset0:150 offset1:180
	s_waitcnt vmcnt(3) lgkmcnt(1)
	v_mul_f32_e32 v18, v41, v15
	v_mul_f32_e32 v26, v42, v17
	;; [unrolled: 1-line block ×4, first 2 shown]
	v_fmac_f32_e32 v18, v20, v14
	v_fmac_f32_e32 v26, v21, v16
	v_fma_f32 v20, v41, v14, -v13
	v_fma_f32 v22, v42, v16, -v15
	ds_read2_b32 v[13:14], v0 offset0:210 offset1:240
	s_waitcnt vmcnt(2)
	v_mul_f32_e32 v16, v24, v32
	s_waitcnt lgkmcnt(1)
	v_fma_f32 v21, v11, v31, -v16
	ds_read_b32 v16, v0 offset:1080
	v_mul_f32_e32 v30, v12, v34
	v_mul_f32_e32 v17, v25, v34
	v_mul_f32_e32 v15, v11, v32
	v_fmac_f32_e32 v30, v25, v33
	v_fma_f32 v25, v12, v33, -v17
	ds_read_b32 v33, v8
	s_waitcnt vmcnt(1) lgkmcnt(2)
	v_mul_f32_e32 v11, v13, v36
	v_mul_f32_e32 v12, v28, v36
	v_fmac_f32_e32 v15, v24, v31
	v_fmac_f32_e32 v11, v28, v35
	v_fma_f32 v24, v13, v35, -v12
	s_waitcnt vmcnt(0) lgkmcnt(1)
	v_mul_f32_e32 v12, v16, v6
	v_mul_f32_e32 v6, v44, v6
	v_add_f32_e32 v35, v7, v18
	v_mul_f32_e32 v31, v14, v38
	v_fmac_f32_e32 v12, v44, v5
	v_fma_f32 v34, v16, v5, -v6
	v_mov_b32_e32 v5, 2
	v_add_f32_e32 v35, v35, v15
	v_fmac_f32_e32 v31, v29, v37
	v_lshlrev_b32_sdwa v5, v5, v46 dst_sel:DWORD dst_unused:UNUSED_PAD src0_sel:DWORD src1_sel:BYTE_0
	v_mad_u32_u24 v6, v45, s0, 0
	v_add_f32_e32 v35, v35, v11
	v_add_f32_e32 v36, v21, v24
	v_add3_u32 v9, v6, v5, v9
	v_sub_f32_e32 v5, v23, v26
	v_sub_f32_e32 v6, v31, v30
	v_add_f32_e32 v42, v35, v12
	v_add_f32_e32 v35, v15, v11
	v_fma_f32 v36, -0.5, v36, v10
	v_mul_f32_e32 v17, v29, v38
	v_add_f32_e32 v5, v5, v6
	v_sub_f32_e32 v6, v18, v15
	v_sub_f32_e32 v13, v12, v11
	v_add_f32_e32 v16, v26, v30
	v_fma_f32 v35, -0.5, v35, v7
	v_sub_f32_e32 v46, v18, v12
	v_mov_b32_e32 v38, v36
	v_fma_f32 v29, v14, v37, -v17
	v_add_f32_e32 v6, v6, v13
	v_sub_f32_e32 v13, v20, v21
	v_sub_f32_e32 v14, v34, v24
	v_fma_f32 v16, -0.5, v16, v43
	v_sub_f32_e32 v44, v20, v34
	v_mov_b32_e32 v37, v35
	v_fmac_f32_e32 v38, 0x3f737871, v46
	v_sub_f32_e32 v47, v15, v11
	v_add_f32_e32 v13, v13, v14
	v_add_f32_e32 v14, v43, v23
	v_sub_f32_e32 v17, v19, v29
	v_mov_b32_e32 v28, v16
	v_fmac_f32_e32 v37, 0xbf737871, v44
	v_sub_f32_e32 v45, v21, v24
	v_fmac_f32_e32 v38, 0x3f167918, v47
	v_add_f32_e32 v14, v14, v26
	v_fmac_f32_e32 v28, 0xbf737871, v17
	v_sub_f32_e32 v32, v22, v25
	v_fmac_f32_e32 v37, 0xbf167918, v45
	v_fmac_f32_e32 v38, 0x3e9e377a, v13
	v_add_f32_e32 v14, v14, v30
	v_fmac_f32_e32 v28, 0xbf167918, v32
	v_fmac_f32_e32 v37, 0x3e9e377a, v6
	v_mul_f32_e32 v48, 0xbf167918, v38
	v_add_f32_e32 v14, v14, v31
	v_fmac_f32_e32 v28, 0x3e9e377a, v5
	v_fmac_f32_e32 v48, 0x3f4f1bbd, v37
	v_add_f32_e32 v39, v14, v42
	v_add_f32_e32 v40, v28, v48
	s_waitcnt lgkmcnt(0)
	; wave barrier
	s_waitcnt lgkmcnt(0)
	ds_write2_b32 v9, v39, v40 offset1:10
	v_add_f32_e32 v39, v23, v31
	v_fmac_f32_e32 v43, -0.5, v39
	v_mov_b32_e32 v49, v43
	v_sub_f32_e32 v39, v26, v23
	v_sub_f32_e32 v40, v30, v31
	v_fmac_f32_e32 v49, 0x3f737871, v32
	v_fmac_f32_e32 v43, 0xbf737871, v32
	v_add_f32_e32 v39, v39, v40
	v_fmac_f32_e32 v49, 0xbf167918, v17
	v_fmac_f32_e32 v43, 0x3f167918, v17
	v_fmac_f32_e32 v49, 0x3e9e377a, v39
	v_fmac_f32_e32 v43, 0x3e9e377a, v39
	v_add_f32_e32 v39, v18, v12
	v_fmac_f32_e32 v7, -0.5, v39
	v_mov_b32_e32 v39, v7
	v_sub_f32_e32 v15, v15, v18
	v_sub_f32_e32 v11, v11, v12
	v_fmac_f32_e32 v39, 0x3f737871, v45
	v_fmac_f32_e32 v7, 0xbf737871, v45
	v_add_f32_e32 v11, v15, v11
	v_fmac_f32_e32 v39, 0xbf167918, v44
	v_fmac_f32_e32 v7, 0x3f167918, v44
	;; [unrolled: 1-line block ×4, first 2 shown]
	v_sub_f32_e32 v11, v21, v20
	v_sub_f32_e32 v12, v24, v34
	v_add_f32_e32 v11, v11, v12
	v_add_f32_e32 v12, v20, v34
	v_fma_f32 v40, -0.5, v12, v10
	v_mov_b32_e32 v41, v40
	v_fmac_f32_e32 v36, 0xbf737871, v46
	v_fmac_f32_e32 v41, 0xbf737871, v47
	;; [unrolled: 1-line block ×13, first 2 shown]
	v_mul_f32_e32 v6, 0xbf167918, v36
	v_fmac_f32_e32 v40, 0x3e9e377a, v11
	v_mul_f32_e32 v11, 0xbf737871, v41
	v_fmac_f32_e32 v16, 0x3e9e377a, v5
	v_fmac_f32_e32 v6, 0xbf4f1bbd, v35
	v_fmac_f32_e32 v11, 0x3e9e377a, v39
	v_mul_f32_e32 v12, 0xbf737871, v40
	v_sub_f32_e32 v5, v14, v42
	v_add_f32_e32 v13, v16, v6
	v_fmac_f32_e32 v12, 0xbe9e377a, v7
	v_add_f32_e32 v15, v49, v11
	ds_write2_b32 v9, v13, v5 offset0:40 offset1:50
	v_sub_f32_e32 v5, v28, v48
	v_sub_f32_e32 v11, v49, v11
	v_add_f32_e32 v18, v43, v12
	ds_write2_b32 v9, v5, v11 offset0:60 offset1:70
	v_sub_f32_e32 v11, v43, v12
	v_sub_f32_e32 v5, v16, v6
	ds_write2_b32 v9, v15, v18 offset0:20 offset1:30
	ds_write2_b32 v9, v11, v5 offset0:80 offset1:90
	s_waitcnt lgkmcnt(0)
	; wave barrier
	s_waitcnt lgkmcnt(0)
	ds_read_b32 v32, v8
	v_add_u32_e32 v42, 0x200, v0
	ds_read2_b32 v[13:14], v0 offset0:100 offset1:130
	ds_read2_b32 v[17:18], v0 offset0:160 offset1:200
	;; [unrolled: 1-line block ×4, first 2 shown]
	v_cmp_gt_u32_e64 s[0:1], 10, v27
                                        ; implicit-def: $vgpr28
	s_and_saveexec_b64 s[4:5], s[0:1]
	s_cbranch_execz .LBB0_15
; %bb.14:
	ds_read2_b32 v[5:6], v0 offset0:90 offset1:190
	ds_read_b32 v28, v0 offset:1160
.LBB0_15:
	s_or_b64 exec, exec, s[4:5]
	v_add_f32_e32 v44, v22, v25
	v_fma_f32 v44, -0.5, v44, v33
	v_sub_f32_e32 v23, v23, v31
	v_mov_b32_e32 v31, v44
	v_fmac_f32_e32 v31, 0x3f737871, v23
	v_sub_f32_e32 v26, v26, v30
	v_sub_f32_e32 v30, v19, v22
	;; [unrolled: 1-line block ×3, first 2 shown]
	v_fmac_f32_e32 v44, 0xbf737871, v23
	v_fmac_f32_e32 v31, 0x3f167918, v26
	v_add_f32_e32 v30, v30, v45
	v_fmac_f32_e32 v44, 0xbf167918, v26
	v_fmac_f32_e32 v31, 0x3e9e377a, v30
	;; [unrolled: 1-line block ×3, first 2 shown]
	v_add_f32_e32 v30, v19, v29
	v_add_f32_e32 v43, v33, v19
	v_fmac_f32_e32 v33, -0.5, v30
	v_mov_b32_e32 v30, v33
	v_add_f32_e32 v10, v10, v20
	v_add_f32_e32 v43, v43, v22
	v_fmac_f32_e32 v30, 0xbf737871, v26
	v_sub_f32_e32 v19, v22, v19
	v_sub_f32_e32 v22, v25, v29
	v_fmac_f32_e32 v33, 0x3f737871, v26
	v_add_f32_e32 v10, v10, v21
	v_add_f32_e32 v43, v43, v25
	v_fmac_f32_e32 v30, 0x3f167918, v23
	v_add_f32_e32 v19, v19, v22
	v_fmac_f32_e32 v33, 0xbf167918, v23
	v_add_f32_e32 v10, v10, v24
	v_mul_f32_e32 v20, 0x3f4f1bbd, v38
	v_mul_f32_e32 v22, 0x3e9e377a, v41
	;; [unrolled: 1-line block ×4, first 2 shown]
	v_add_f32_e32 v43, v43, v29
	v_fmac_f32_e32 v30, 0x3e9e377a, v19
	v_fmac_f32_e32 v33, 0x3e9e377a, v19
	v_add_f32_e32 v10, v10, v34
	v_fmac_f32_e32 v20, 0x3f167918, v37
	v_fmac_f32_e32 v22, 0x3f737871, v39
	v_fma_f32 v7, v7, s7, -v24
	v_fma_f32 v25, v35, s6, -v25
	v_add_f32_e32 v19, v43, v10
	v_add_f32_e32 v21, v31, v20
	;; [unrolled: 1-line block ×5, first 2 shown]
	v_sub_f32_e32 v20, v31, v20
	v_sub_f32_e32 v22, v30, v22
	;; [unrolled: 1-line block ×5, first 2 shown]
	s_waitcnt lgkmcnt(0)
	; wave barrier
	s_waitcnt lgkmcnt(0)
	ds_write2_b32 v9, v19, v21 offset1:10
	ds_write2_b32 v9, v23, v24 offset0:20 offset1:30
	ds_write2_b32 v9, v26, v10 offset0:40 offset1:50
	;; [unrolled: 1-line block ×4, first 2 shown]
	s_waitcnt lgkmcnt(0)
	; wave barrier
	s_waitcnt lgkmcnt(0)
	ds_read_b32 v30, v8
	ds_read2_b32 v[21:22], v0 offset0:100 offset1:130
	ds_read2_b32 v[25:26], v0 offset0:160 offset1:200
	;; [unrolled: 1-line block ×4, first 2 shown]
                                        ; implicit-def: $vgpr29
	s_and_saveexec_b64 s[4:5], s[0:1]
	s_cbranch_execz .LBB0_17
; %bb.16:
	ds_read2_b32 v[7:8], v0 offset0:90 offset1:190
	ds_read_b32 v29, v0 offset:1160
.LBB0_17:
	s_or_b64 exec, exec, s[4:5]
	s_and_saveexec_b64 s[4:5], vcc
	s_cbranch_execz .LBB0_20
; %bb.18:
	v_lshlrev_b32_e32 v41, 1, v27
	v_add_u32_e32 v9, 0x78, v41
	v_mov_b32_e32 v10, 0
	v_lshlrev_b64 v[33:34], 3, v[9:10]
	v_mov_b32_e32 v42, v10
	v_mov_b32_e32 v0, s9
	v_add_co_u32_e32 v33, vcc, s8, v33
	v_lshlrev_b64 v[37:38], 3, v[41:42]
	v_addc_co_u32_e32 v34, vcc, v0, v34, vcc
	v_add_u32_e32 v9, 60, v41
	v_add_co_u32_e32 v37, vcc, s8, v37
	v_lshlrev_b64 v[41:42], 3, v[9:10]
	v_addc_co_u32_e32 v38, vcc, v0, v38, vcc
	v_add_co_u32_e32 v41, vcc, s8, v41
	global_load_dwordx4 v[33:36], v[33:34], off offset:720
	v_addc_co_u32_e32 v42, vcc, v0, v42, vcc
	global_load_dwordx4 v[37:40], v[37:38], off offset:720
	v_mul_lo_u32 v0, s3, v3
	global_load_dwordx4 v[41:44], v[41:42], off offset:720
	v_mul_lo_u32 v9, s2, v4
	v_mad_u64_u32 v[3:4], s[2:3], s2, v3, 0
	s_mov_b32 s4, 0x51eb851f
	s_movk_i32 s5, 0x64
	v_add3_u32 v4, v4, v9, v0
	v_lshlrev_b64 v[3:4], 3, v[3:4]
	s_movk_i32 s6, 0x12c
	v_add_co_u32_e32 v3, vcc, s14, v3
	s_waitcnt vmcnt(2)
	v_mul_f32_e32 v0, v17, v34
	v_mul_f32_e32 v9, v16, v36
	s_waitcnt lgkmcnt(2)
	v_mul_f32_e32 v31, v25, v34
	s_waitcnt lgkmcnt(0)
	v_mul_f32_e32 v34, v24, v36
	s_waitcnt vmcnt(1)
	v_mul_f32_e32 v36, v13, v38
	v_mul_f32_e32 v45, v18, v40
	;; [unrolled: 1-line block ×3, first 2 shown]
	v_fma_f32 v0, v25, v33, -v0
	v_fma_f32 v9, v24, v35, -v9
	v_fmac_f32_e32 v31, v17, v33
	v_fmac_f32_e32 v34, v16, v35
	s_waitcnt vmcnt(0)
	v_mul_f32_e32 v16, v14, v42
	v_mul_f32_e32 v24, v22, v42
	;; [unrolled: 1-line block ×5, first 2 shown]
	v_fma_f32 v35, v21, v37, -v36
	v_fmac_f32_e32 v40, v18, v39
	v_sub_f32_e32 v33, v31, v34
	v_add_f32_e32 v18, v20, v0
	v_add_f32_e32 v21, v31, v34
	;; [unrolled: 1-line block ×3, first 2 shown]
	v_fma_f32 v16, v22, v41, -v16
	v_fmac_f32_e32 v24, v14, v41
	v_fmac_f32_e32 v25, v15, v43
	v_fma_f32 v26, v26, v39, -v45
	v_fmac_f32_e32 v38, v13, v37
	v_add_f32_e32 v13, v0, v9
	v_fma_f32 v22, v23, v43, -v17
	v_add_f32_e32 v15, v18, v9
	v_fma_f32 v12, -0.5, v21, v12
	v_add_f32_e32 v14, v31, v34
	v_add_f32_e32 v18, v19, v16
	;; [unrolled: 1-line block ×3, first 2 shown]
	v_sub_f32_e32 v0, v0, v9
	v_add_f32_e32 v17, v35, v26
	v_fma_f32 v13, -0.5, v13, v20
	v_mov_b32_e32 v20, v12
	v_add_f32_e32 v23, v18, v22
	v_fma_f32 v18, -0.5, v31, v11
	v_add_f32_e32 v37, v30, v35
	v_add_f32_e32 v9, v16, v22
	v_sub_f32_e32 v16, v16, v22
	v_fma_f32 v17, -0.5, v17, v30
	v_fmac_f32_e32 v12, 0xbf5db3d7, v0
	v_fmac_f32_e32 v20, 0x3f5db3d7, v0
	v_mov_b32_e32 v30, v18
	v_add_f32_e32 v0, v38, v40
	v_fmac_f32_e32 v18, 0xbf5db3d7, v16
	v_fmac_f32_e32 v30, 0x3f5db3d7, v16
	v_fma_f32 v16, -0.5, v0, v32
	v_mul_hi_u32 v0, v27, s4
	v_sub_f32_e32 v34, v24, v25
	v_add_f32_e32 v24, v11, v24
	v_mov_b32_e32 v21, v13
	v_lshrrev_b32_e32 v0, 5, v0
	v_mul_lo_u32 v0, v0, s5
	v_fma_f32 v19, -0.5, v9, v19
	v_add_f32_e32 v22, v24, v25
	v_sub_f32_e32 v9, v35, v26
	v_mov_b32_e32 v24, v16
	v_add_u32_e32 v11, 30, v27
	v_fmac_f32_e32 v13, 0x3f5db3d7, v33
	v_fmac_f32_e32 v21, 0xbf5db3d7, v33
	v_add_f32_e32 v33, v37, v26
	v_fmac_f32_e32 v24, 0x3f5db3d7, v9
	v_fmac_f32_e32 v16, 0xbf5db3d7, v9
	v_add_f32_e32 v9, v32, v38
	v_mul_hi_u32 v26, v11, s4
	v_add_f32_e32 v32, v9, v40
	v_sub_u32_e32 v9, v27, v0
	v_mov_b32_e32 v0, s15
	v_addc_co_u32_e32 v4, vcc, v0, v4, vcc
	v_lshlrev_b64 v[0:1], 3, v[1:2]
	v_sub_f32_e32 v36, v38, v40
	v_add_co_u32_e32 v2, vcc, v3, v0
	v_lshlrev_b32_e32 v0, 3, v9
	v_lshrrev_b32_e32 v9, 5, v26
	v_addc_co_u32_e32 v3, vcc, v4, v1, vcc
	v_mul_lo_u32 v4, v9, s5
	v_add_co_u32_e32 v0, vcc, v2, v0
	v_addc_co_u32_e32 v1, vcc, 0, v3, vcc
	v_sub_u32_e32 v4, v11, v4
	global_store_dwordx2 v[0:1], v[32:33], off
	v_mad_u64_u32 v[32:33], s[2:3], v9, s6, v[4:5]
	v_mov_b32_e32 v25, v17
	v_fmac_f32_e32 v17, 0x3f5db3d7, v36
	v_mov_b32_e32 v33, v10
	v_fmac_f32_e32 v25, 0xbf5db3d7, v36
	global_store_dwordx2 v[0:1], v[16:17], off offset:800
	global_store_dwordx2 v[0:1], v[24:25], off offset:1600
	v_lshlrev_b64 v[0:1], 3, v[32:33]
	v_add_u32_e32 v9, 0x64, v32
	v_add_co_u32_e32 v0, vcc, v2, v0
	v_addc_co_u32_e32 v1, vcc, v3, v1, vcc
	v_add_u32_e32 v4, 60, v27
	global_store_dwordx2 v[0:1], v[22:23], off
	v_lshlrev_b64 v[0:1], 3, v[9:10]
	v_mul_hi_u32 v9, v4, s4
	v_add_co_u32_e32 v0, vcc, v2, v0
	v_mov_b32_e32 v31, v19
	v_lshrrev_b32_e32 v11, 5, v9
	v_mul_lo_u32 v16, v11, s5
	v_fmac_f32_e32 v19, 0x3f5db3d7, v34
	v_addc_co_u32_e32 v1, vcc, v3, v1, vcc
	v_add_u32_e32 v9, 0xc8, v32
	v_sub_u32_e32 v4, v4, v16
	global_store_dwordx2 v[0:1], v[18:19], off
	v_lshlrev_b64 v[0:1], 3, v[9:10]
	v_mad_u64_u32 v[16:17], s[2:3], v11, s6, v[4:5]
	v_add_co_u32_e32 v0, vcc, v2, v0
	v_fmac_f32_e32 v31, 0xbf5db3d7, v34
	v_addc_co_u32_e32 v1, vcc, v3, v1, vcc
	v_mov_b32_e32 v17, v10
	global_store_dwordx2 v[0:1], v[30:31], off
	v_lshlrev_b64 v[0:1], 3, v[16:17]
	v_add_u32_e32 v9, 0x64, v16
	v_add_co_u32_e32 v0, vcc, v2, v0
	v_addc_co_u32_e32 v1, vcc, v3, v1, vcc
	global_store_dwordx2 v[0:1], v[14:15], off
	v_lshlrev_b64 v[0:1], 3, v[9:10]
	v_add_u32_e32 v9, 0xc8, v16
	v_add_co_u32_e32 v0, vcc, v2, v0
	v_addc_co_u32_e32 v1, vcc, v3, v1, vcc
	global_store_dwordx2 v[0:1], v[12:13], off
	v_lshlrev_b64 v[0:1], 3, v[9:10]
	v_add_co_u32_e32 v0, vcc, v2, v0
	v_addc_co_u32_e32 v1, vcc, v3, v1, vcc
	global_store_dwordx2 v[0:1], v[20:21], off
	v_add_u32_e32 v0, 0x5a, v27
	v_cmp_gt_u32_e32 vcc, s5, v0
	s_and_b64 exec, exec, vcc
	s_cbranch_execz .LBB0_20
; %bb.19:
	v_mov_b32_e32 v1, 0x5a
	v_cndmask_b32_e64 v1, -10, v1, s[0:1]
	v_add_lshl_u32 v9, v27, v1, 1
	v_lshlrev_b64 v[11:12], 3, v[9:10]
	v_mov_b32_e32 v1, s9
	v_add_co_u32_e32 v11, vcc, s8, v11
	v_addc_co_u32_e32 v12, vcc, v1, v12, vcc
	global_load_dwordx4 v[11:14], v[11:12], off offset:720
	v_mov_b32_e32 v1, v10
	v_lshlrev_b64 v[0:1], 3, v[0:1]
	v_add_u32_e32 v9, 0xbe, v27
	v_add_co_u32_e32 v0, vcc, v2, v0
	v_lshlrev_b64 v[15:16], 3, v[9:10]
	v_addc_co_u32_e32 v1, vcc, v3, v1, vcc
	v_add_u32_e32 v9, 0x122, v27
	v_lshlrev_b64 v[9:10], 3, v[9:10]
	v_add_co_u32_e32 v15, vcc, v2, v15
	v_addc_co_u32_e32 v16, vcc, v3, v16, vcc
	v_add_co_u32_e32 v2, vcc, v2, v9
	v_addc_co_u32_e32 v3, vcc, v3, v10, vcc
	s_waitcnt vmcnt(0)
	v_mul_f32_e32 v4, v8, v12
	v_mul_f32_e32 v9, v6, v12
	;; [unrolled: 1-line block ×4, first 2 shown]
	v_fmac_f32_e32 v4, v6, v11
	v_fma_f32 v6, v8, v11, -v9
	v_fmac_f32_e32 v10, v28, v13
	v_fma_f32 v9, v29, v13, -v12
	v_add_f32_e32 v11, v4, v10
	v_sub_f32_e32 v12, v6, v9
	v_add_f32_e32 v13, v7, v6
	v_add_f32_e32 v6, v6, v9
	;; [unrolled: 1-line block ×3, first 2 shown]
	v_fmac_f32_e32 v5, -0.5, v11
	v_fmac_f32_e32 v7, -0.5, v6
	v_sub_f32_e32 v4, v4, v10
	v_add_f32_e32 v8, v8, v10
	v_mov_b32_e32 v10, v5
	v_mov_b32_e32 v11, v7
	v_add_f32_e32 v9, v13, v9
	v_fmac_f32_e32 v7, 0xbf5db3d7, v4
	v_fmac_f32_e32 v10, 0xbf5db3d7, v12
	;; [unrolled: 1-line block ×4, first 2 shown]
	global_store_dwordx2 v[0:1], v[8:9], off
	v_mov_b32_e32 v6, v7
	global_store_dwordx2 v[15:16], v[10:11], off
	global_store_dwordx2 v[2:3], v[5:6], off
.LBB0_20:
	s_endpgm
	.section	.rodata,"a",@progbits
	.p2align	6, 0x0
	.amdhsa_kernel fft_rtc_back_len300_factors_10_10_3_wgs_60_tpt_30_halfLds_sp_op_CI_CI_unitstride_sbrr_dirReg
		.amdhsa_group_segment_fixed_size 0
		.amdhsa_private_segment_fixed_size 0
		.amdhsa_kernarg_size 104
		.amdhsa_user_sgpr_count 6
		.amdhsa_user_sgpr_private_segment_buffer 1
		.amdhsa_user_sgpr_dispatch_ptr 0
		.amdhsa_user_sgpr_queue_ptr 0
		.amdhsa_user_sgpr_kernarg_segment_ptr 1
		.amdhsa_user_sgpr_dispatch_id 0
		.amdhsa_user_sgpr_flat_scratch_init 0
		.amdhsa_user_sgpr_private_segment_size 0
		.amdhsa_uses_dynamic_stack 0
		.amdhsa_system_sgpr_private_segment_wavefront_offset 0
		.amdhsa_system_sgpr_workgroup_id_x 1
		.amdhsa_system_sgpr_workgroup_id_y 0
		.amdhsa_system_sgpr_workgroup_id_z 0
		.amdhsa_system_sgpr_workgroup_info 0
		.amdhsa_system_vgpr_workitem_id 0
		.amdhsa_next_free_vgpr 51
		.amdhsa_next_free_sgpr 28
		.amdhsa_reserve_vcc 1
		.amdhsa_reserve_flat_scratch 0
		.amdhsa_float_round_mode_32 0
		.amdhsa_float_round_mode_16_64 0
		.amdhsa_float_denorm_mode_32 3
		.amdhsa_float_denorm_mode_16_64 3
		.amdhsa_dx10_clamp 1
		.amdhsa_ieee_mode 1
		.amdhsa_fp16_overflow 0
		.amdhsa_exception_fp_ieee_invalid_op 0
		.amdhsa_exception_fp_denorm_src 0
		.amdhsa_exception_fp_ieee_div_zero 0
		.amdhsa_exception_fp_ieee_overflow 0
		.amdhsa_exception_fp_ieee_underflow 0
		.amdhsa_exception_fp_ieee_inexact 0
		.amdhsa_exception_int_div_zero 0
	.end_amdhsa_kernel
	.text
.Lfunc_end0:
	.size	fft_rtc_back_len300_factors_10_10_3_wgs_60_tpt_30_halfLds_sp_op_CI_CI_unitstride_sbrr_dirReg, .Lfunc_end0-fft_rtc_back_len300_factors_10_10_3_wgs_60_tpt_30_halfLds_sp_op_CI_CI_unitstride_sbrr_dirReg
                                        ; -- End function
	.section	.AMDGPU.csdata,"",@progbits
; Kernel info:
; codeLenInByte = 5252
; NumSgprs: 32
; NumVgprs: 51
; ScratchSize: 0
; MemoryBound: 0
; FloatMode: 240
; IeeeMode: 1
; LDSByteSize: 0 bytes/workgroup (compile time only)
; SGPRBlocks: 3
; VGPRBlocks: 12
; NumSGPRsForWavesPerEU: 32
; NumVGPRsForWavesPerEU: 51
; Occupancy: 4
; WaveLimiterHint : 1
; COMPUTE_PGM_RSRC2:SCRATCH_EN: 0
; COMPUTE_PGM_RSRC2:USER_SGPR: 6
; COMPUTE_PGM_RSRC2:TRAP_HANDLER: 0
; COMPUTE_PGM_RSRC2:TGID_X_EN: 1
; COMPUTE_PGM_RSRC2:TGID_Y_EN: 0
; COMPUTE_PGM_RSRC2:TGID_Z_EN: 0
; COMPUTE_PGM_RSRC2:TIDIG_COMP_CNT: 0
	.type	__hip_cuid_4f3e8b4ec7499b86,@object ; @__hip_cuid_4f3e8b4ec7499b86
	.section	.bss,"aw",@nobits
	.globl	__hip_cuid_4f3e8b4ec7499b86
__hip_cuid_4f3e8b4ec7499b86:
	.byte	0                               ; 0x0
	.size	__hip_cuid_4f3e8b4ec7499b86, 1

	.ident	"AMD clang version 19.0.0git (https://github.com/RadeonOpenCompute/llvm-project roc-6.4.0 25133 c7fe45cf4b819c5991fe208aaa96edf142730f1d)"
	.section	".note.GNU-stack","",@progbits
	.addrsig
	.addrsig_sym __hip_cuid_4f3e8b4ec7499b86
	.amdgpu_metadata
---
amdhsa.kernels:
  - .args:
      - .actual_access:  read_only
        .address_space:  global
        .offset:         0
        .size:           8
        .value_kind:     global_buffer
      - .offset:         8
        .size:           8
        .value_kind:     by_value
      - .actual_access:  read_only
        .address_space:  global
        .offset:         16
        .size:           8
        .value_kind:     global_buffer
      - .actual_access:  read_only
        .address_space:  global
        .offset:         24
        .size:           8
        .value_kind:     global_buffer
      - .actual_access:  read_only
        .address_space:  global
        .offset:         32
        .size:           8
        .value_kind:     global_buffer
      - .offset:         40
        .size:           8
        .value_kind:     by_value
      - .actual_access:  read_only
        .address_space:  global
        .offset:         48
        .size:           8
        .value_kind:     global_buffer
      - .actual_access:  read_only
        .address_space:  global
        .offset:         56
        .size:           8
        .value_kind:     global_buffer
      - .offset:         64
        .size:           4
        .value_kind:     by_value
      - .actual_access:  read_only
        .address_space:  global
        .offset:         72
        .size:           8
        .value_kind:     global_buffer
      - .actual_access:  read_only
        .address_space:  global
        .offset:         80
        .size:           8
        .value_kind:     global_buffer
      - .actual_access:  read_only
        .address_space:  global
        .offset:         88
        .size:           8
        .value_kind:     global_buffer
      - .actual_access:  write_only
        .address_space:  global
        .offset:         96
        .size:           8
        .value_kind:     global_buffer
    .group_segment_fixed_size: 0
    .kernarg_segment_align: 8
    .kernarg_segment_size: 104
    .language:       OpenCL C
    .language_version:
      - 2
      - 0
    .max_flat_workgroup_size: 60
    .name:           fft_rtc_back_len300_factors_10_10_3_wgs_60_tpt_30_halfLds_sp_op_CI_CI_unitstride_sbrr_dirReg
    .private_segment_fixed_size: 0
    .sgpr_count:     32
    .sgpr_spill_count: 0
    .symbol:         fft_rtc_back_len300_factors_10_10_3_wgs_60_tpt_30_halfLds_sp_op_CI_CI_unitstride_sbrr_dirReg.kd
    .uniform_work_group_size: 1
    .uses_dynamic_stack: false
    .vgpr_count:     51
    .vgpr_spill_count: 0
    .wavefront_size: 64
amdhsa.target:   amdgcn-amd-amdhsa--gfx906
amdhsa.version:
  - 1
  - 2
...

	.end_amdgpu_metadata
